;; amdgpu-corpus repo=zjin-lcf/HeCBench kind=compiled arch=gfx906 opt=O3
	.amdgcn_target "amdgcn-amd-amdhsa--gfx906"
	.amdhsa_code_object_version 6
	.text
	.protected	_Z13matern_kernelifPKfS0_S0_Pf ; -- Begin function _Z13matern_kernelifPKfS0_S0_Pf
	.globl	_Z13matern_kernelifPKfS0_S0_Pf
	.p2align	8
	.type	_Z13matern_kernelifPKfS0_S0_Pf,@function
_Z13matern_kernelifPKfS0_S0_Pf:         ; @_Z13matern_kernelifPKfS0_S0_Pf
; %bb.0:
	s_load_dword s0, s[4:5], 0x34
	s_load_dwordx2 s[8:9], s[4:5], 0x0
	s_waitcnt lgkmcnt(0)
	s_and_b32 s0, s0, 0xffff
	s_mul_i32 s6, s6, s0
	v_add_u32_e32 v2, s6, v0
	v_cmp_gt_i32_e32 vcc, s8, v2
	s_and_saveexec_b64 s[0:1], vcc
	s_cbranch_execz .LBB0_8
; %bb.1:
	v_cmp_gt_u32_e32 vcc, 50, v1
	s_and_b64 exec, exec, vcc
	s_cbranch_execz .LBB0_8
; %bb.2:
	v_cmp_eq_u32_e64 s[0:1], 0, v1
	v_mul_u32_u24_e32 v4, 12, v0
	s_and_saveexec_b64 s[2:3], s[0:1]
	s_cbranch_execz .LBB0_4
; %bb.3:
	s_load_dwordx2 s[6:7], s[4:5], 0x10
	v_lshl_add_u32 v5, v2, 1, v2
	v_ashrrev_i32_e32 v6, 31, v5
	v_lshlrev_b64 v[5:6], 2, v[5:6]
	s_waitcnt lgkmcnt(0)
	v_mov_b32_e32 v3, s7
	v_add_co_u32_e32 v5, vcc, s6, v5
	v_addc_co_u32_e32 v6, vcc, v3, v6, vcc
	global_load_dwordx3 v[5:7], v[5:6], off
	v_mov_b32_e32 v3, 0xfb0
	v_mad_u32_u24 v3, v0, 12, v3
	s_waitcnt vmcnt(0)
	ds_write2_b32 v3, v5, v6 offset1:1
	ds_write_b32 v4, v7 offset:4024
.LBB0_4:
	s_or_b64 exec, exec, s[2:3]
	v_cmp_eq_u32_e32 vcc, 0, v0
	v_lshlrev_b32_e32 v3, 2, v1
	s_and_saveexec_b64 s[2:3], vcc
	s_cbranch_execz .LBB0_6
; %bb.5:
	s_load_dwordx2 s[6:7], s[4:5], 0x8
	s_load_dwordx2 s[10:11], s[4:5], 0x18
	v_mul_u32_u24_e32 v5, 3, v1
	v_lshlrev_b32_e32 v8, 2, v5
	v_add_u32_e32 v10, 0xc80, v8
	s_waitcnt lgkmcnt(0)
	global_load_dwordx3 v[5:7], v8, s[6:7]
	global_load_dword v9, v3, s[10:11]
	s_waitcnt vmcnt(1)
	ds_write2_b32 v10, v5, v6 offset1:1
	ds_write_b32 v8, v7 offset:3208
	s_waitcnt vmcnt(0)
	ds_write_b32 v3, v9 offset:3808
.LBB0_6:
	s_or_b64 exec, exec, s[2:3]
	v_mov_b32_e32 v5, 0xfb0
	v_mov_b32_e32 v6, 0xc80
	v_mad_u32_u24 v5, v0, 12, v5
	v_mad_u32_u24 v7, v1, 12, v6
	s_waitcnt lgkmcnt(0)
	s_barrier
	ds_read2_b32 v[5:6], v5 offset1:1
	ds_read2_b32 v[7:8], v7 offset1:1
	v_mul_u32_u24_e32 v1, 12, v1
	ds_read_b32 v4, v4 offset:4024
	ds_read_b32 v9, v3 offset:3808
	;; [unrolled: 1-line block ×3, first 2 shown]
	s_mov_b32 s2, 0xf800000
	v_mov_b32_e32 v10, 0x40400000
	s_waitcnt lgkmcnt(3)
	v_sub_f32_e32 v6, v6, v8
	v_sub_f32_e32 v5, v5, v7
	v_mul_f32_e32 v6, v6, v6
	v_fmac_f32_e32 v6, v5, v5
	s_waitcnt lgkmcnt(0)
	v_sub_f32_e32 v1, v4, v1
	v_fmac_f32_e32 v6, v1, v1
	v_mul_f32_e32 v1, 0x4f800000, v6
	v_cmp_gt_f32_e32 vcc, s2, v6
	v_cndmask_b32_e32 v1, v6, v1, vcc
	v_sqrt_f32_e32 v4, v1
	v_mul_f32_e32 v10, s9, v10
	v_mul_f32_e32 v6, 0x40a00000, v6
	;; [unrolled: 1-line block ×3, first 2 shown]
	v_add_u32_e32 v5, -1, v4
	v_fma_f32 v7, -v5, v4, v1
	v_cmp_ge_f32_e64 s[2:3], 0, v7
	v_add_u32_e32 v7, 1, v4
	v_cndmask_b32_e64 v5, v4, v5, s[2:3]
	v_fma_f32 v4, -v7, v4, v1
	v_cmp_lt_f32_e64 s[2:3], 0, v4
	v_cndmask_b32_e64 v4, v5, v7, s[2:3]
	v_mul_f32_e32 v5, 0x37800000, v4
	v_cndmask_b32_e32 v4, v4, v5, vcc
	v_mov_b32_e32 v5, 0x260
	v_cmp_class_f32_e32 vcc, v1, v5
	v_cndmask_b32_e32 v1, v4, v1, vcc
	v_mul_f32_e32 v4, 0x400f1bbd, v1
	v_div_scale_f32 v5, s[2:3], s9, s9, v4
	v_div_scale_f32 v8, vcc, v4, s9, v4
	v_div_scale_f32 v11, s[2:3], v10, v10, v6
	v_div_scale_f32 v13, s[2:3], v6, v10, v6
	v_mul_f32_e32 v1, 0xc00f1bbd, v1
	v_div_scale_f32 v14, s[6:7], s9, s9, v1
	v_rcp_f32_e32 v7, v5
	v_fma_f32 v12, -v5, v7, 1.0
	v_fmac_f32_e32 v7, v12, v7
	v_mul_f32_e32 v12, v8, v7
	v_fma_f32 v15, -v5, v12, v8
	v_fmac_f32_e32 v12, v15, v7
	v_div_scale_f32 v15, s[6:7], v1, s9, v1
	v_rcp_f32_e32 v16, v11
	v_fma_f32 v5, -v5, v12, v8
	v_div_fmas_f32 v5, v5, v7, v12
	s_mov_b64 vcc, s[2:3]
	v_fma_f32 v7, -v11, v16, 1.0
	v_fmac_f32_e32 v16, v7, v16
	v_mul_f32_e32 v7, v13, v16
	v_fma_f32 v8, -v11, v7, v13
	v_fmac_f32_e32 v7, v8, v16
	v_rcp_f32_e32 v8, v14
	v_fma_f32 v11, -v11, v7, v13
	v_div_fmas_f32 v7, v11, v16, v7
	s_mov_b64 vcc, s[6:7]
	v_fma_f32 v11, -v14, v8, 1.0
	v_fmac_f32_e32 v8, v11, v8
	v_mul_f32_e32 v11, v15, v8
	v_fma_f32 v12, -v14, v11, v15
	v_fmac_f32_e32 v11, v12, v8
	v_fma_f32 v12, -v14, v11, v15
	v_div_fmas_f32 v8, v12, v8, v11
	v_div_fixup_f32 v4, v5, s9, v4
	s_mov_b32 s2, 0x3fb8aa3b
	v_add_f32_e32 v4, 1.0, v4
	v_div_fixup_f32 v6, v7, v10, v6
	v_add_f32_e32 v4, v6, v4
	v_mov_b32_e32 v6, 0x7f800000
	v_div_fixup_f32 v1, v8, s9, v1
	v_mul_f32_e32 v5, 0x3fb8aa3b, v1
	v_fma_f32 v8, v1, s2, -v5
	v_rndne_f32_e32 v11, v5
	v_fmac_f32_e32 v8, 0x32a5705f, v1
	v_sub_f32_e32 v5, v5, v11
	v_add_f32_e32 v5, v5, v8
	v_exp_f32_e32 v5, v5
	v_cvt_i32_f32_e32 v8, v11
	s_mov_b32 s2, 0xc2ce8ed0
	v_cmp_ngt_f32_e32 vcc, s2, v1
	s_mov_b32 s2, 0x42b17218
	v_ldexp_f32 v5, v5, v8
	v_cndmask_b32_e32 v5, 0, v5, vcc
	v_cmp_nlt_f32_e32 vcc, s2, v1
	v_cndmask_b32_e32 v1, v6, v5, vcc
	v_mul_f32_e32 v1, v1, v4
	s_movk_i32 s2, 0xc8
	v_mul_f32_e32 v1, v1, v9
	v_mad_u32_u24 v3, v0, s2, v3
	ds_write_b32 v3, v1
	s_waitcnt lgkmcnt(0)
	s_barrier
	s_and_b64 exec, exec, s[0:1]
	s_cbranch_execz .LBB0_8
; %bb.7:
	v_mul_u32_u24_e32 v0, 0xc8, v0
	ds_read2_b64 v[3:6], v0 offset1:1
	ds_read2_b64 v[7:10], v0 offset0:2 offset1:3
	ds_read2_b64 v[11:14], v0 offset0:4 offset1:5
	;; [unrolled: 1-line block ×3, first 2 shown]
	s_load_dwordx2 s[0:1], s[4:5], 0x20
	s_waitcnt lgkmcnt(0)
	v_add_f32_e32 v1, 0, v3
	v_add_f32_e32 v1, v1, v4
	;; [unrolled: 1-line block ×12, first 2 shown]
	ds_read2_b64 v[3:6], v0 offset0:8 offset1:9
	ds_read2_b64 v[7:10], v0 offset0:10 offset1:11
	v_add_f32_e32 v1, v1, v15
	v_add_f32_e32 v1, v1, v16
	;; [unrolled: 1-line block ×4, first 2 shown]
	s_waitcnt lgkmcnt(1)
	v_add_f32_e32 v1, v1, v3
	v_add_f32_e32 v1, v1, v4
	v_add_f32_e32 v1, v1, v5
	v_add_f32_e32 v1, v1, v6
	ds_read2_b64 v[3:6], v0 offset0:12 offset1:13
	s_waitcnt lgkmcnt(1)
	v_add_f32_e32 v1, v1, v7
	v_add_f32_e32 v1, v1, v8
	v_add_f32_e32 v1, v1, v9
	v_add_f32_e32 v1, v1, v10
	ds_read2_b64 v[7:10], v0 offset0:14 offset1:15
	;; [unrolled: 6-line block ×6, first 2 shown]
	s_waitcnt lgkmcnt(1)
	v_add_f32_e32 v1, v1, v3
	v_add_f32_e32 v1, v1, v4
	;; [unrolled: 1-line block ×4, first 2 shown]
	ds_read_b64 v[0:1], v0 offset:192
	s_waitcnt lgkmcnt(1)
	v_add_f32_e32 v3, v3, v7
	v_add_f32_e32 v3, v3, v8
	;; [unrolled: 1-line block ×4, first 2 shown]
	s_waitcnt lgkmcnt(0)
	v_add_f32_e32 v0, v3, v0
	v_ashrrev_i32_e32 v3, 31, v2
	v_add_f32_e32 v4, v0, v1
	v_lshlrev_b64 v[0:1], 2, v[2:3]
	v_mov_b32_e32 v2, s1
	v_add_co_u32_e32 v0, vcc, s0, v0
	v_addc_co_u32_e32 v1, vcc, v2, v1, vcc
	global_store_dword v[0:1], v4, off
.LBB0_8:
	s_endpgm
	.section	.rodata,"a",@progbits
	.p2align	6, 0x0
	.amdhsa_kernel _Z13matern_kernelifPKfS0_S0_Pf
		.amdhsa_group_segment_fixed_size 4208
		.amdhsa_private_segment_fixed_size 0
		.amdhsa_kernarg_size 296
		.amdhsa_user_sgpr_count 6
		.amdhsa_user_sgpr_private_segment_buffer 1
		.amdhsa_user_sgpr_dispatch_ptr 0
		.amdhsa_user_sgpr_queue_ptr 0
		.amdhsa_user_sgpr_kernarg_segment_ptr 1
		.amdhsa_user_sgpr_dispatch_id 0
		.amdhsa_user_sgpr_flat_scratch_init 0
		.amdhsa_user_sgpr_private_segment_size 0
		.amdhsa_uses_dynamic_stack 0
		.amdhsa_system_sgpr_private_segment_wavefront_offset 0
		.amdhsa_system_sgpr_workgroup_id_x 1
		.amdhsa_system_sgpr_workgroup_id_y 0
		.amdhsa_system_sgpr_workgroup_id_z 0
		.amdhsa_system_sgpr_workgroup_info 0
		.amdhsa_system_vgpr_workitem_id 1
		.amdhsa_next_free_vgpr 29
		.amdhsa_next_free_sgpr 61
		.amdhsa_reserve_vcc 1
		.amdhsa_reserve_flat_scratch 0
		.amdhsa_float_round_mode_32 0
		.amdhsa_float_round_mode_16_64 0
		.amdhsa_float_denorm_mode_32 3
		.amdhsa_float_denorm_mode_16_64 3
		.amdhsa_dx10_clamp 1
		.amdhsa_ieee_mode 1
		.amdhsa_fp16_overflow 0
		.amdhsa_exception_fp_ieee_invalid_op 0
		.amdhsa_exception_fp_denorm_src 0
		.amdhsa_exception_fp_ieee_div_zero 0
		.amdhsa_exception_fp_ieee_overflow 0
		.amdhsa_exception_fp_ieee_underflow 0
		.amdhsa_exception_fp_ieee_inexact 0
		.amdhsa_exception_int_div_zero 0
	.end_amdhsa_kernel
	.text
.Lfunc_end0:
	.size	_Z13matern_kernelifPKfS0_S0_Pf, .Lfunc_end0-_Z13matern_kernelifPKfS0_S0_Pf
                                        ; -- End function
	.set _Z13matern_kernelifPKfS0_S0_Pf.num_vgpr, 19
	.set _Z13matern_kernelifPKfS0_S0_Pf.num_agpr, 0
	.set _Z13matern_kernelifPKfS0_S0_Pf.numbered_sgpr, 12
	.set _Z13matern_kernelifPKfS0_S0_Pf.num_named_barrier, 0
	.set _Z13matern_kernelifPKfS0_S0_Pf.private_seg_size, 0
	.set _Z13matern_kernelifPKfS0_S0_Pf.uses_vcc, 1
	.set _Z13matern_kernelifPKfS0_S0_Pf.uses_flat_scratch, 0
	.set _Z13matern_kernelifPKfS0_S0_Pf.has_dyn_sized_stack, 0
	.set _Z13matern_kernelifPKfS0_S0_Pf.has_recursion, 0
	.set _Z13matern_kernelifPKfS0_S0_Pf.has_indirect_call, 0
	.section	.AMDGPU.csdata,"",@progbits
; Kernel info:
; codeLenInByte = 1316
; TotalNumSgprs: 16
; NumVgprs: 19
; ScratchSize: 0
; MemoryBound: 0
; FloatMode: 240
; IeeeMode: 1
; LDSByteSize: 4208 bytes/workgroup (compile time only)
; SGPRBlocks: 8
; VGPRBlocks: 7
; NumSGPRsForWavesPerEU: 65
; NumVGPRsForWavesPerEU: 29
; Occupancy: 8
; WaveLimiterHint : 0
; COMPUTE_PGM_RSRC2:SCRATCH_EN: 0
; COMPUTE_PGM_RSRC2:USER_SGPR: 6
; COMPUTE_PGM_RSRC2:TRAP_HANDLER: 0
; COMPUTE_PGM_RSRC2:TGID_X_EN: 1
; COMPUTE_PGM_RSRC2:TGID_Y_EN: 0
; COMPUTE_PGM_RSRC2:TGID_Z_EN: 0
; COMPUTE_PGM_RSRC2:TIDIG_COMP_CNT: 1
	.section	.AMDGPU.gpr_maximums,"",@progbits
	.set amdgpu.max_num_vgpr, 0
	.set amdgpu.max_num_agpr, 0
	.set amdgpu.max_num_sgpr, 0
	.section	.AMDGPU.csdata,"",@progbits
	.type	__hip_cuid_55de11508b8007bb,@object ; @__hip_cuid_55de11508b8007bb
	.section	.bss,"aw",@nobits
	.globl	__hip_cuid_55de11508b8007bb
__hip_cuid_55de11508b8007bb:
	.byte	0                               ; 0x0
	.size	__hip_cuid_55de11508b8007bb, 1

	.ident	"AMD clang version 22.0.0git (https://github.com/RadeonOpenCompute/llvm-project roc-7.2.4 26084 f58b06dce1f9c15707c5f808fd002e18c2accf7e)"
	.section	".note.GNU-stack","",@progbits
	.addrsig
	.addrsig_sym __hip_cuid_55de11508b8007bb
	.amdgpu_metadata
---
amdhsa.kernels:
  - .args:
      - .offset:         0
        .size:           4
        .value_kind:     by_value
      - .offset:         4
        .size:           4
        .value_kind:     by_value
      - .actual_access:  read_only
        .address_space:  global
        .offset:         8
        .size:           8
        .value_kind:     global_buffer
      - .actual_access:  read_only
        .address_space:  global
        .offset:         16
        .size:           8
        .value_kind:     global_buffer
      - .actual_access:  read_only
        .address_space:  global
        .offset:         24
        .size:           8
        .value_kind:     global_buffer
      - .actual_access:  write_only
        .address_space:  global
        .offset:         32
        .size:           8
        .value_kind:     global_buffer
      - .offset:         40
        .size:           4
        .value_kind:     hidden_block_count_x
      - .offset:         44
        .size:           4
        .value_kind:     hidden_block_count_y
      - .offset:         48
        .size:           4
        .value_kind:     hidden_block_count_z
      - .offset:         52
        .size:           2
        .value_kind:     hidden_group_size_x
      - .offset:         54
        .size:           2
        .value_kind:     hidden_group_size_y
      - .offset:         56
        .size:           2
        .value_kind:     hidden_group_size_z
      - .offset:         58
        .size:           2
        .value_kind:     hidden_remainder_x
      - .offset:         60
        .size:           2
        .value_kind:     hidden_remainder_y
      - .offset:         62
        .size:           2
        .value_kind:     hidden_remainder_z
      - .offset:         80
        .size:           8
        .value_kind:     hidden_global_offset_x
      - .offset:         88
        .size:           8
        .value_kind:     hidden_global_offset_y
      - .offset:         96
        .size:           8
        .value_kind:     hidden_global_offset_z
      - .offset:         104
        .size:           2
        .value_kind:     hidden_grid_dims
    .group_segment_fixed_size: 4208
    .kernarg_segment_align: 8
    .kernarg_segment_size: 296
    .language:       OpenCL C
    .language_version:
      - 2
      - 0
    .max_flat_workgroup_size: 1024
    .name:           _Z13matern_kernelifPKfS0_S0_Pf
    .private_segment_fixed_size: 0
    .sgpr_count:     16
    .sgpr_spill_count: 0
    .symbol:         _Z13matern_kernelifPKfS0_S0_Pf.kd
    .uniform_work_group_size: 1
    .uses_dynamic_stack: false
    .vgpr_count:     19
    .vgpr_spill_count: 0
    .wavefront_size: 64
amdhsa.target:   amdgcn-amd-amdhsa--gfx906
amdhsa.version:
  - 1
  - 2
...

	.end_amdgpu_metadata
